;; amdgpu-corpus repo=ROCm/rocFFT kind=compiled arch=gfx1201 opt=O3
	.text
	.amdgcn_target "amdgcn-amd-amdhsa--gfx1201"
	.amdhsa_code_object_version 6
	.protected	bluestein_single_fwd_len147_dim1_dp_op_CI_CI ; -- Begin function bluestein_single_fwd_len147_dim1_dp_op_CI_CI
	.globl	bluestein_single_fwd_len147_dim1_dp_op_CI_CI
	.p2align	8
	.type	bluestein_single_fwd_len147_dim1_dp_op_CI_CI,@function
bluestein_single_fwd_len147_dim1_dp_op_CI_CI: ; @bluestein_single_fwd_len147_dim1_dp_op_CI_CI
; %bb.0:
	s_load_b128 s[16:19], s[0:1], 0x28
	v_mul_u32_u24_e32 v1, 0xc31, v0
	s_mov_b32 s2, exec_lo
	s_delay_alu instid0(VALU_DEP_1) | instskip(NEXT) | instid1(VALU_DEP_1)
	v_lshrrev_b32_e32 v1, 16, v1
	v_mad_co_u64_u32 v[112:113], null, ttmp9, 3, v[1:2]
	v_mov_b32_e32 v113, 0
	s_wait_kmcnt 0x0
	s_delay_alu instid0(VALU_DEP_1)
	v_cmpx_gt_u64_e64 s[16:17], v[112:113]
	s_cbranch_execz .LBB0_10
; %bb.1:
	s_clause 0x1
	s_load_b128 s[4:7], s[0:1], 0x18
	s_load_b128 s[8:11], s[0:1], 0x0
	v_mul_lo_u16 v1, v1, 21
	v_mul_hi_u32 v85, 0xaaaaaaab, v112
	s_mov_b32 s16, 0x36b3c0b5
	s_mov_b32 s17, 0x3fac98ee
	;; [unrolled: 1-line block ×3, first 2 shown]
	v_sub_nc_u16 v36, v0, v1
	s_mov_b32 s20, 0x5476071b
	s_mov_b32 s25, 0x3fd5d0dc
	;; [unrolled: 1-line block ×4, first 2 shown]
	v_and_b32_e32 v115, 0xffff, v36
	s_mov_b32 s27, 0xbfd5d0dc
	s_mov_b32 s22, s20
	;; [unrolled: 1-line block ×4, first 2 shown]
	v_lshlrev_b32_e32 v117, 4, v115
	s_mov_b32 s29, 0x3fdc38aa
                                        ; implicit-def: $vgpr108_vgpr109
	s_wait_kmcnt 0x0
	s_load_b128 s[12:15], s[4:5], 0x0
	s_wait_kmcnt 0x0
	v_mad_co_u64_u32 v[0:1], null, s14, v112, 0
	v_mad_co_u64_u32 v[2:3], null, s12, v115, 0
	s_mul_u64 s[2:3], s[12:13], 0x150
	s_delay_alu instid0(VALU_DEP_1) | instskip(SKIP_2) | instid1(VALU_DEP_1)
	v_mad_co_u64_u32 v[4:5], null, s15, v112, v[1:2]
	s_mov_b32 s14, 0xe976ee23
	s_mov_b32 s15, 0xbfe11646
	v_mad_co_u64_u32 v[5:6], null, s13, v115, v[3:4]
	v_mov_b32_e32 v1, v4
	s_mov_b32 s12, 0x37e14327
	s_mov_b32 s13, 0x3fe948f6
	s_delay_alu instid0(VALU_DEP_1) | instskip(NEXT) | instid1(VALU_DEP_3)
	v_lshlrev_b64_e32 v[0:1], 4, v[0:1]
	v_mov_b32_e32 v3, v5
	s_delay_alu instid0(VALU_DEP_2) | instskip(NEXT) | instid1(VALU_DEP_2)
	v_add_co_u32 v0, vcc_lo, s18, v0
	v_lshlrev_b64_e32 v[2:3], 4, v[2:3]
	s_delay_alu instid0(VALU_DEP_4) | instskip(SKIP_2) | instid1(VALU_DEP_2)
	v_add_co_ci_u32_e32 v1, vcc_lo, s19, v1, vcc_lo
	s_mov_b32 s18, 0xaaaaaaaa
	s_mov_b32 s19, 0xbff2aaaa
	v_add_co_u32 v16, vcc_lo, v0, v2
	s_wait_alu 0xfffd
	v_add_co_ci_u32_e32 v17, vcc_lo, v1, v3, vcc_lo
	s_clause 0x1
	global_load_b128 v[0:3], v117, s[8:9]
	global_load_b128 v[4:7], v117, s[8:9] offset:336
	v_add_co_u32 v18, vcc_lo, v16, s2
	s_wait_alu 0xfffd
	v_add_co_ci_u32_e32 v19, vcc_lo, s3, v17, vcc_lo
	s_clause 0x1
	global_load_b128 v[8:11], v117, s[8:9] offset:672
	global_load_b128 v[12:15], v117, s[8:9] offset:1008
	v_add_co_u32 v20, vcc_lo, v18, s2
	s_wait_alu 0xfffd
	v_add_co_ci_u32_e32 v21, vcc_lo, s3, v19, vcc_lo
	s_clause 0x1
	global_load_b128 v[28:31], v[16:17], off
	global_load_b128 v[32:35], v[18:19], off
	v_add_co_u32 v22, vcc_lo, v20, s2
	s_wait_alu 0xfffd
	v_add_co_ci_u32_e32 v23, vcc_lo, s3, v21, vcc_lo
	s_clause 0x1
	global_load_b128 v[37:40], v[20:21], off
	global_load_b128 v[41:44], v[22:23], off
	v_add_co_u32 v16, vcc_lo, v22, s2
	s_wait_alu 0xfffd
	v_add_co_ci_u32_e32 v17, vcc_lo, s3, v23, vcc_lo
	s_delay_alu instid0(VALU_DEP_2) | instskip(SKIP_1) | instid1(VALU_DEP_2)
	v_add_co_u32 v24, vcc_lo, v16, s2
	s_wait_alu 0xfffd
	v_add_co_ci_u32_e32 v25, vcc_lo, s3, v17, vcc_lo
	global_load_b128 v[45:48], v[16:17], off
	v_add_co_u32 v53, vcc_lo, v24, s2
	s_wait_alu 0xfffd
	v_add_co_ci_u32_e32 v54, vcc_lo, s3, v25, vcc_lo
	s_clause 0x1
	global_load_b128 v[20:23], v117, s[8:9] offset:1344
	global_load_b128 v[16:19], v117, s[8:9] offset:1680
	global_load_b128 v[49:52], v[24:25], off
	global_load_b128 v[24:27], v117, s[8:9] offset:2016
	global_load_b128 v[53:56], v[53:54], off
	s_load_b128 s[4:7], s[6:7], 0x0
	s_mov_b32 s2, 0x429ad128
	s_mov_b32 s3, 0x3febfeb5
	v_cmp_gt_u16_e32 vcc_lo, 7, v36
	s_wait_loadcnt 0x9
	v_mul_f64_e32 v[57:58], v[30:31], v[2:3]
	v_mul_f64_e32 v[59:60], v[28:29], v[2:3]
	s_wait_loadcnt 0x8
	v_mul_f64_e32 v[61:62], v[34:35], v[6:7]
	v_mul_f64_e32 v[63:64], v[32:33], v[6:7]
	;; [unrolled: 3-line block ×7, first 2 shown]
	v_fma_f64 v[28:29], v[28:29], v[0:1], v[57:58]
	v_fma_f64 v[30:31], v[30:31], v[0:1], -v[59:60]
	v_fma_f64 v[32:33], v[32:33], v[4:5], v[61:62]
	v_fma_f64 v[34:35], v[34:35], v[4:5], -v[63:64]
	v_lshrrev_b32_e32 v57, 1, v85
	v_fma_f64 v[37:38], v[37:38], v[8:9], v[65:66]
	v_fma_f64 v[39:40], v[39:40], v[8:9], -v[67:68]
	v_fma_f64 v[41:42], v[41:42], v[12:13], v[69:70]
	v_fma_f64 v[43:44], v[43:44], v[12:13], -v[71:72]
	v_lshl_add_u32 v57, v57, 1, v57
	s_delay_alu instid0(VALU_DEP_1)
	v_sub_nc_u32_e32 v57, v112, v57
	v_fma_f64 v[45:46], v[45:46], v[20:21], v[73:74]
	v_fma_f64 v[47:48], v[47:48], v[20:21], -v[75:76]
	v_fma_f64 v[49:50], v[49:50], v[16:17], v[77:78]
	v_fma_f64 v[51:52], v[51:52], v[16:17], -v[79:80]
	;; [unrolled: 2-line block ×3, first 2 shown]
	v_mul_u32_u24_e32 v57, 0x93, v57
	s_delay_alu instid0(VALU_DEP_1) | instskip(NEXT) | instid1(VALU_DEP_1)
	v_lshlrev_b32_e32 v120, 4, v57
	v_add_nc_u32_e32 v116, v117, v120
	ds_store_b128 v116, v[28:31]
	ds_store_b128 v116, v[32:35] offset:336
	ds_store_b128 v116, v[37:40] offset:672
	;; [unrolled: 1-line block ×6, first 2 shown]
	global_wb scope:SCOPE_SE
	s_wait_dscnt 0x0
	s_wait_kmcnt 0x0
	s_barrier_signal -1
	s_barrier_wait -1
	global_inv scope:SCOPE_SE
	ds_load_b128 v[28:31], v116 offset:336
	ds_load_b128 v[32:35], v116 offset:2016
	ds_load_b128 v[37:40], v116 offset:1680
	ds_load_b128 v[41:44], v116 offset:672
	ds_load_b128 v[45:48], v116 offset:1008
	ds_load_b128 v[49:52], v116 offset:1344
	s_wait_dscnt 0x4
	v_add_f64_e32 v[53:54], v[28:29], v[32:33]
	v_add_f64_e32 v[55:56], v[30:31], v[34:35]
	s_wait_dscnt 0x2
	v_add_f64_e32 v[57:58], v[41:42], v[37:38]
	v_add_f64_e32 v[59:60], v[43:44], v[39:40]
	v_add_f64_e64 v[37:38], v[41:42], -v[37:38]
	v_add_f64_e64 v[39:40], v[43:44], -v[39:40]
	s_wait_dscnt 0x0
	v_add_f64_e32 v[41:42], v[45:46], v[49:50]
	v_add_f64_e32 v[43:44], v[47:48], v[51:52]
	v_add_f64_e64 v[45:46], v[49:50], -v[45:46]
	v_add_f64_e64 v[47:48], v[51:52], -v[47:48]
	;; [unrolled: 1-line block ×4, first 2 shown]
	v_add_f64_e32 v[28:29], v[57:58], v[53:54]
	v_add_f64_e32 v[30:31], v[59:60], v[55:56]
	v_add_f64_e64 v[49:50], v[53:54], -v[41:42]
	v_add_f64_e64 v[51:52], v[55:56], -v[43:44]
	;; [unrolled: 1-line block ×6, first 2 shown]
	v_add_f64_e32 v[37:38], v[45:46], v[37:38]
	v_add_f64_e32 v[39:40], v[47:48], v[39:40]
	v_add_f64_e64 v[45:46], v[32:33], -v[45:46]
	v_add_f64_e64 v[47:48], v[34:35], -v[47:48]
	;; [unrolled: 1-line block ×4, first 2 shown]
	v_add_f64_e32 v[69:70], v[41:42], v[28:29]
	v_add_f64_e32 v[71:72], v[43:44], v[30:31]
	v_add_f64_e64 v[41:42], v[41:42], -v[57:58]
	v_add_f64_e64 v[43:44], v[43:44], -v[59:60]
	ds_load_b128 v[28:31], v116
	v_mul_f64_e32 v[49:50], s[12:13], v[49:50]
	v_mul_f64_e32 v[51:52], s[12:13], v[51:52]
	;; [unrolled: 1-line block ×4, first 2 shown]
	s_wait_alu 0xfffe
	v_mul_f64_e32 v[73:74], s[2:3], v[65:66]
	v_mul_f64_e32 v[75:76], s[2:3], v[67:68]
	v_add_f64_e32 v[32:33], v[37:38], v[32:33]
	v_add_f64_e32 v[34:35], v[39:40], v[34:35]
	global_wb scope:SCOPE_SE
	s_wait_dscnt 0x0
	s_barrier_signal -1
	s_barrier_wait -1
	global_inv scope:SCOPE_SE
	v_add_f64_e32 v[28:29], v[28:29], v[69:70]
	v_add_f64_e32 v[30:31], v[30:31], v[71:72]
	v_mul_f64_e32 v[57:58], s[16:17], v[41:42]
	v_mul_f64_e32 v[59:60], s[16:17], v[43:44]
	v_fma_f64 v[37:38], v[41:42], s[16:17], v[49:50]
	v_fma_f64 v[39:40], v[43:44], s[16:17], v[51:52]
	;; [unrolled: 1-line block ×4, first 2 shown]
	v_fma_f64 v[61:62], v[65:66], s[2:3], -v[61:62]
	v_fma_f64 v[63:64], v[67:68], s[2:3], -v[63:64]
	;; [unrolled: 1-line block ×6, first 2 shown]
	v_fma_f64 v[65:66], v[69:70], s[18:19], v[28:29]
	v_fma_f64 v[67:68], v[71:72], s[18:19], v[30:31]
	v_fma_f64 v[53:54], v[53:54], s[20:21], -v[57:58]
	v_fma_f64 v[55:56], v[55:56], s[20:21], -v[59:60]
	v_fma_f64 v[57:58], v[32:33], s[28:29], v[41:42]
	v_fma_f64 v[59:60], v[34:35], s[28:29], v[43:44]
	;; [unrolled: 1-line block ×5, first 2 shown]
	v_and_b32_e32 v32, 0xff, v36
	v_fma_f64 v[71:72], v[34:35], s[28:29], v[47:48]
	s_delay_alu instid0(VALU_DEP_2) | instskip(NEXT) | instid1(VALU_DEP_1)
	v_mul_lo_u16 v32, v32, 37
	v_lshrrev_b16 v32, 8, v32
	s_delay_alu instid0(VALU_DEP_1) | instskip(NEXT) | instid1(VALU_DEP_1)
	v_sub_nc_u16 v33, v36, v32
	v_lshrrev_b16 v33, 1, v33
	s_delay_alu instid0(VALU_DEP_1)
	v_and_b32_e32 v33, 0x7f, v33
	v_add_f64_e32 v[73:74], v[37:38], v[65:66]
	v_add_f64_e32 v[75:76], v[39:40], v[67:68]
	;; [unrolled: 1-line block ×6, first 2 shown]
	v_add_nc_u16 v65, v33, v32
	s_delay_alu instid0(VALU_DEP_1)
	v_lshrrev_b16 v104, 2, v65
	v_add_f64_e32 v[32:33], v[73:74], v[59:60]
	v_add_f64_e64 v[34:35], v[75:76], -v[57:58]
	v_add_f64_e32 v[37:38], v[49:50], v[71:72]
	v_add_f64_e64 v[39:40], v[51:52], -v[69:70]
	v_add_f64_e64 v[41:42], v[45:46], -v[63:64]
	v_add_f64_e32 v[43:44], v[61:62], v[47:48]
	v_add_f64_e32 v[45:46], v[45:46], v[63:64]
	v_add_f64_e64 v[47:48], v[47:48], -v[61:62]
	v_add_f64_e64 v[49:50], v[49:50], -v[71:72]
	v_add_f64_e32 v[51:52], v[69:70], v[51:52]
	v_add_f64_e64 v[53:54], v[73:74], -v[59:60]
	v_add_f64_e32 v[55:56], v[57:58], v[75:76]
	v_mul_lo_u16 v57, v104, 7
	v_mul_lo_u16 v58, v36, 7
	s_delay_alu instid0(VALU_DEP_2) | instskip(NEXT) | instid1(VALU_DEP_1)
	v_sub_nc_u16 v57, v36, v57
	v_and_b32_e32 v105, 0xff, v57
	s_delay_alu instid0(VALU_DEP_3) | instskip(NEXT) | instid1(VALU_DEP_2)
	v_and_b32_e32 v57, 0xffff, v58
	v_mul_u32_u24_e32 v58, 6, v105
	s_delay_alu instid0(VALU_DEP_2)
	v_lshl_add_u32 v119, v57, 4, v120
	ds_store_b128 v119, v[28:31]
	ds_store_b128 v119, v[32:35] offset:16
	ds_store_b128 v119, v[37:40] offset:32
	;; [unrolled: 1-line block ×6, first 2 shown]
	v_lshlrev_b32_e32 v60, 4, v58
	global_wb scope:SCOPE_SE
	s_wait_dscnt 0x0
	s_barrier_signal -1
	s_barrier_wait -1
	global_inv scope:SCOPE_SE
	s_clause 0x5
	global_load_b128 v[32:35], v60, s[10:11]
	global_load_b128 v[28:31], v60, s[10:11] offset:16
	global_load_b128 v[44:47], v60, s[10:11] offset:80
	;; [unrolled: 1-line block ×5, first 2 shown]
	ds_load_b128 v[37:40], v116 offset:336
	ds_load_b128 v[60:63], v116 offset:672
	ds_load_b128 v[64:67], v116 offset:2016
	ds_load_b128 v[68:71], v116 offset:1680
	ds_load_b128 v[72:75], v116 offset:1008
	ds_load_b128 v[76:79], v116 offset:1344
	s_wait_loadcnt_dscnt 0x505
	v_mul_f64_e32 v[41:42], v[39:40], v[34:35]
	v_mul_f64_e32 v[80:81], v[37:38], v[34:35]
	s_wait_loadcnt_dscnt 0x404
	v_mul_f64_e32 v[82:83], v[62:63], v[30:31]
	v_mul_f64_e32 v[84:85], v[60:61], v[30:31]
	;; [unrolled: 3-line block ×6, first 2 shown]
	v_fma_f64 v[37:38], v[37:38], v[32:33], -v[41:42]
	v_fma_f64 v[39:40], v[39:40], v[32:33], v[80:81]
	v_fma_f64 v[41:42], v[60:61], v[28:29], -v[82:83]
	v_fma_f64 v[60:61], v[62:63], v[28:29], v[84:85]
	;; [unrolled: 2-line block ×6, first 2 shown]
	v_add_f64_e32 v[78:79], v[37:38], v[62:63]
	v_add_f64_e32 v[80:81], v[39:40], v[64:65]
	;; [unrolled: 1-line block ×4, first 2 shown]
	v_add_f64_e64 v[41:42], v[41:42], -v[66:67]
	v_add_f64_e64 v[60:61], v[60:61], -v[68:69]
	v_add_f64_e32 v[66:67], v[70:71], v[74:75]
	v_add_f64_e32 v[68:69], v[72:73], v[76:77]
	v_add_f64_e64 v[70:71], v[74:75], -v[70:71]
	v_add_f64_e64 v[72:73], v[76:77], -v[72:73]
	;; [unrolled: 1-line block ×4, first 2 shown]
	v_add_f64_e32 v[37:38], v[82:83], v[78:79]
	v_add_f64_e32 v[39:40], v[84:85], v[80:81]
	v_add_f64_e64 v[74:75], v[78:79], -v[66:67]
	v_add_f64_e64 v[76:77], v[80:81], -v[68:69]
	;; [unrolled: 1-line block ×6, first 2 shown]
	v_add_f64_e32 v[41:42], v[70:71], v[41:42]
	v_add_f64_e32 v[60:61], v[72:73], v[60:61]
	v_add_f64_e64 v[70:71], v[62:63], -v[70:71]
	v_add_f64_e64 v[72:73], v[64:65], -v[72:73]
	;; [unrolled: 1-line block ×4, first 2 shown]
	v_add_f64_e32 v[94:95], v[66:67], v[37:38]
	v_add_f64_e32 v[96:97], v[68:69], v[39:40]
	v_add_f64_e64 v[66:67], v[66:67], -v[82:83]
	v_add_f64_e64 v[68:69], v[68:69], -v[84:85]
	ds_load_b128 v[37:40], v116
	v_mul_f64_e32 v[74:75], s[12:13], v[74:75]
	v_mul_f64_e32 v[76:77], s[12:13], v[76:77]
	;; [unrolled: 1-line block ×6, first 2 shown]
	v_add_f64_e32 v[41:42], v[41:42], v[62:63]
	v_add_f64_e32 v[60:61], v[60:61], v[64:65]
	global_wb scope:SCOPE_SE
	s_wait_dscnt 0x0
	s_barrier_signal -1
	s_barrier_wait -1
	global_inv scope:SCOPE_SE
	v_add_f64_e32 v[37:38], v[37:38], v[94:95]
	v_add_f64_e32 v[39:40], v[39:40], v[96:97]
	v_mul_f64_e32 v[82:83], s[16:17], v[66:67]
	v_mul_f64_e32 v[84:85], s[16:17], v[68:69]
	v_fma_f64 v[62:63], v[66:67], s[16:17], v[74:75]
	v_fma_f64 v[64:65], v[68:69], s[16:17], v[76:77]
	;; [unrolled: 1-line block ×4, first 2 shown]
	v_fma_f64 v[86:87], v[90:91], s[2:3], -v[86:87]
	v_fma_f64 v[88:89], v[92:93], s[2:3], -v[88:89]
	;; [unrolled: 1-line block ×6, first 2 shown]
	s_load_b64 s[2:3], s[0:1], 0x38
	v_add_co_u32 v113, s0, s8, v117
	s_wait_alu 0xf1ff
	v_add_co_ci_u32_e64 v114, null, s9, 0, s0
	v_fma_f64 v[90:91], v[94:95], s[18:19], v[37:38]
	v_fma_f64 v[92:93], v[96:97], s[18:19], v[39:40]
	v_fma_f64 v[78:79], v[78:79], s[20:21], -v[82:83]
	v_fma_f64 v[80:81], v[80:81], s[20:21], -v[84:85]
	v_fma_f64 v[82:83], v[41:42], s[28:29], v[66:67]
	v_fma_f64 v[84:85], v[60:61], s[28:29], v[68:69]
	;; [unrolled: 1-line block ×6, first 2 shown]
	v_add_f64_e32 v[96:97], v[62:63], v[90:91]
	v_add_f64_e32 v[98:99], v[64:65], v[92:93]
	;; [unrolled: 1-line block ×7, first 2 shown]
	v_add_f64_e64 v[62:63], v[98:99], -v[82:83]
	v_add_f64_e32 v[64:65], v[94:95], v[100:101]
	v_add_f64_e64 v[66:67], v[102:103], -v[41:42]
	v_add_f64_e64 v[68:69], v[72:73], -v[88:89]
	v_add_f64_e32 v[70:71], v[86:87], v[74:75]
	v_add_f64_e32 v[72:73], v[88:89], v[72:73]
	v_add_f64_e64 v[74:75], v[74:75], -v[86:87]
	v_add_f64_e64 v[76:77], v[100:101], -v[94:95]
	v_add_f64_e32 v[78:79], v[41:42], v[102:103]
	v_add_f64_e64 v[84:85], v[96:97], -v[84:85]
	v_add_f64_e32 v[86:87], v[82:83], v[98:99]
	v_and_b32_e32 v41, 0xffff, v104
	s_delay_alu instid0(VALU_DEP_1) | instskip(NEXT) | instid1(VALU_DEP_1)
	v_mul_u32_u24_e32 v41, 49, v41
	v_add_nc_u32_e32 v41, v41, v105
                                        ; implicit-def: $vgpr104_vgpr105
	s_delay_alu instid0(VALU_DEP_1)
	v_lshl_add_u32 v118, v41, 4, v120
	ds_store_b128 v118, v[37:40]
	ds_store_b128 v118, v[60:63] offset:112
	ds_store_b128 v118, v[64:67] offset:224
	;; [unrolled: 1-line block ×6, first 2 shown]
	global_wb scope:SCOPE_SE
	s_wait_dscnt 0x0
	s_wait_kmcnt 0x0
	s_barrier_signal -1
	s_barrier_wait -1
	global_inv scope:SCOPE_SE
	ds_load_b128 v[80:83], v116
	ds_load_b128 v[76:79], v116 offset:336
	ds_load_b128 v[96:99], v116 offset:784
	;; [unrolled: 1-line block ×5, first 2 shown]
	s_and_saveexec_b32 s0, vcc_lo
	s_cbranch_execz .LBB0_3
; %bb.2:
	ds_load_b128 v[84:87], v116 offset:672
	ds_load_b128 v[104:107], v116 offset:1456
	;; [unrolled: 1-line block ×3, first 2 shown]
.LBB0_3:
	s_wait_alu 0xfffe
	s_or_b32 exec_lo, exec_lo, s0
	v_add_co_u32 v36, s0, v115, 42
	s_wait_alu 0xf1ff
	v_add_co_ci_u32_e64 v37, null, 0, 0, s0
	v_add_co_u32 v38, s0, v115, -7
	s_wait_alu 0xf1ff
	v_add_co_ci_u32_e64 v39, null, 0, -1, s0
	s_delay_alu instid0(VALU_DEP_2) | instskip(NEXT) | instid1(VALU_DEP_2)
	v_cndmask_b32_e32 v36, v38, v36, vcc_lo
	v_dual_cndmask_b32 v37, v39, v37 :: v_dual_lshlrev_b32 v38, 5, v115
	s_clause 0x1
	global_load_b128 v[60:63], v38, s[10:11] offset:688
	global_load_b128 v[64:67], v38, s[10:11] offset:672
	v_lshlrev_b64_e32 v[36:37], 5, v[36:37]
	v_add_nc_u32_e32 v38, 0x2a0, v38
	s_delay_alu instid0(VALU_DEP_2) | instskip(SKIP_1) | instid1(VALU_DEP_3)
	v_add_co_u32 v36, s0, s10, v36
	s_wait_alu 0xf1ff
	v_add_co_ci_u32_e64 v37, s0, s11, v37, s0
	s_clause 0x3
	global_load_b128 v[72:75], v38, s[10:11] offset:672
	global_load_b128 v[68:71], v38, s[10:11] offset:688
	global_load_b128 v[40:43], v[36:37], off offset:672
	global_load_b128 v[36:39], v[36:37], off offset:688
	s_mov_b32 s0, 0xe8584caa
	s_mov_b32 s1, 0x3febb67a
	;; [unrolled: 1-line block ×3, first 2 shown]
	s_wait_alu 0xfffe
	s_mov_b32 s10, s0
	s_wait_loadcnt_dscnt 0x501
	v_mul_f64_e32 v[123:124], v[102:103], v[62:63]
	s_wait_loadcnt 0x4
	v_mul_f64_e32 v[121:122], v[98:99], v[66:67]
	v_mul_f64_e32 v[125:126], v[96:97], v[66:67]
	;; [unrolled: 1-line block ×3, first 2 shown]
	s_wait_loadcnt 0x3
	v_mul_f64_e32 v[129:130], v[90:91], v[74:75]
	s_wait_loadcnt_dscnt 0x200
	v_mul_f64_e32 v[131:132], v[94:95], v[70:71]
	v_mul_f64_e32 v[133:134], v[88:89], v[74:75]
	;; [unrolled: 1-line block ×3, first 2 shown]
	s_wait_loadcnt 0x1
	v_mul_f64_e32 v[137:138], v[106:107], v[42:43]
	s_wait_loadcnt 0x0
	v_mul_f64_e32 v[139:140], v[110:111], v[38:39]
	v_mul_f64_e32 v[141:142], v[104:105], v[42:43]
	;; [unrolled: 1-line block ×3, first 2 shown]
	v_fma_f64 v[100:101], v[100:101], v[60:61], -v[123:124]
	v_fma_f64 v[96:97], v[96:97], v[64:65], -v[121:122]
	v_fma_f64 v[98:99], v[98:99], v[64:65], v[125:126]
	v_fma_f64 v[102:103], v[102:103], v[60:61], v[127:128]
	v_fma_f64 v[121:122], v[88:89], v[72:73], -v[129:130]
	v_fma_f64 v[123:124], v[92:93], v[68:69], -v[131:132]
	v_fma_f64 v[125:126], v[90:91], v[72:73], v[133:134]
	v_fma_f64 v[127:128], v[94:95], v[68:69], v[135:136]
	;; [unrolled: 4-line block ×3, first 2 shown]
	v_add_f64_e32 v[104:105], v[96:97], v[100:101]
	v_add_f64_e32 v[133:134], v[80:81], v[96:97]
	;; [unrolled: 1-line block ×3, first 2 shown]
	v_add_f64_e64 v[135:136], v[98:99], -v[102:103]
	v_add_f64_e32 v[137:138], v[82:83], v[98:99]
	v_add_f64_e64 v[143:144], v[96:97], -v[100:101]
	v_lshl_add_u32 v96, v115, 4, v120
	v_add_f64_e32 v[139:140], v[76:77], v[121:122]
	v_add_f64_e32 v[108:109], v[121:122], v[123:124]
	;; [unrolled: 1-line block ×4, first 2 shown]
	v_add_f64_e64 v[145:146], v[125:126], -v[127:128]
	v_add_f64_e32 v[129:130], v[90:91], v[88:89]
	v_add_f64_e64 v[147:148], v[121:122], -v[123:124]
	v_add_f64_e32 v[131:132], v[94:95], v[92:93]
	v_add_f64_e64 v[151:152], v[90:91], -v[88:89]
	v_fma_f64 v[80:81], v[104:105], -0.5, v[80:81]
	v_add_f64_e32 v[97:98], v[133:134], v[100:101]
	v_fma_f64 v[82:83], v[106:107], -0.5, v[82:83]
	v_add_f64_e32 v[99:100], v[137:138], v[102:103]
	v_add_f64_e32 v[101:102], v[139:140], v[123:124]
	v_fma_f64 v[76:77], v[108:109], -0.5, v[76:77]
	v_add_f64_e32 v[103:104], v[141:142], v[127:128]
	v_fma_f64 v[78:79], v[110:111], -0.5, v[78:79]
	v_add_f64_e64 v[109:110], v[94:95], -v[92:93]
	v_fma_f64 v[149:150], v[129:130], -0.5, v[84:85]
	v_fma_f64 v[153:154], v[131:132], -0.5, v[86:87]
	v_fma_f64 v[105:106], v[135:136], s[0:1], v[80:81]
	s_wait_alu 0xfffe
	v_fma_f64 v[121:122], v[135:136], s[10:11], v[80:81]
	v_fma_f64 v[107:108], v[143:144], s[10:11], v[82:83]
	;; [unrolled: 1-line block ×11, first 2 shown]
	ds_store_b128 v96, v[105:108] offset:784
	ds_store_b128 v96, v[121:124] offset:1568
	ds_store_b128 v116, v[97:100]
	ds_store_b128 v116, v[101:104] offset:336
	ds_store_b128 v116, v[125:128] offset:1120
	;; [unrolled: 1-line block ×3, first 2 shown]
	s_and_saveexec_b32 s0, vcc_lo
	s_cbranch_execz .LBB0_5
; %bb.4:
	v_add_f64_e32 v[86:87], v[86:87], v[94:95]
	v_add_f64_e32 v[84:85], v[84:85], v[90:91]
	s_delay_alu instid0(VALU_DEP_2) | instskip(NEXT) | instid1(VALU_DEP_2)
	v_add_f64_e32 v[86:87], v[86:87], v[92:93]
	v_add_f64_e32 v[84:85], v[84:85], v[88:89]
	ds_store_b128 v116, v[84:87] offset:672
	ds_store_b128 v96, v[76:79] offset:1456
	ds_store_b128 v96, v[80:83] offset:2240
.LBB0_5:
	s_wait_alu 0xfffe
	s_or_b32 exec_lo, exec_lo, s0
	s_add_nc_u64 s[0:1], s[8:9], 0x930
	global_wb scope:SCOPE_SE
	s_wait_dscnt 0x0
	s_barrier_signal -1
	s_barrier_wait -1
	global_inv scope:SCOPE_SE
	s_clause 0x6
	global_load_b128 v[84:87], v[113:114], off offset:2352
	global_load_b128 v[88:91], v117, s[0:1] offset:336
	global_load_b128 v[92:95], v117, s[0:1] offset:672
	;; [unrolled: 1-line block ×6, first 2 shown]
	ds_load_b128 v[124:127], v116
	ds_load_b128 v[128:131], v116 offset:336
	ds_load_b128 v[132:135], v116 offset:672
	;; [unrolled: 1-line block ×6, first 2 shown]
	s_mov_b32 s8, 0x37e14327
	s_mov_b32 s10, 0xe976ee23
	;; [unrolled: 1-line block ×16, first 2 shown]
	s_wait_alu 0xfffe
	s_mov_b32 s18, s16
	s_mov_b32 s22, s20
	;; [unrolled: 1-line block ×4, first 2 shown]
	s_wait_loadcnt_dscnt 0x606
	v_mul_f64_e32 v[109:110], v[126:127], v[86:87]
	v_mul_f64_e32 v[86:87], v[124:125], v[86:87]
	s_wait_loadcnt_dscnt 0x505
	v_mul_f64_e32 v[113:114], v[130:131], v[90:91]
	v_mul_f64_e32 v[90:91], v[128:129], v[90:91]
	;; [unrolled: 3-line block ×7, first 2 shown]
	v_fma_f64 v[107:108], v[124:125], v[84:85], -v[109:110]
	v_fma_f64 v[109:110], v[126:127], v[84:85], v[86:87]
	v_fma_f64 v[84:85], v[128:129], v[88:89], -v[113:114]
	v_fma_f64 v[86:87], v[130:131], v[88:89], v[90:91]
	;; [unrolled: 2-line block ×7, first 2 shown]
	ds_store_b128 v116, v[107:110]
	ds_store_b128 v116, v[84:87] offset:336
	ds_store_b128 v116, v[88:91] offset:672
	;; [unrolled: 1-line block ×6, first 2 shown]
	global_wb scope:SCOPE_SE
	s_wait_dscnt 0x0
	s_barrier_signal -1
	s_barrier_wait -1
	global_inv scope:SCOPE_SE
	ds_load_b128 v[84:87], v116 offset:336
	ds_load_b128 v[88:91], v116 offset:2016
	;; [unrolled: 1-line block ×6, first 2 shown]
	s_wait_dscnt 0x4
	v_add_f64_e32 v[109:110], v[84:85], v[88:89]
	v_add_f64_e32 v[113:114], v[86:87], v[90:91]
	s_wait_dscnt 0x2
	v_add_f64_e32 v[120:121], v[97:98], v[92:93]
	v_add_f64_e32 v[122:123], v[99:100], v[94:95]
	v_add_f64_e64 v[92:93], v[97:98], -v[92:93]
	v_add_f64_e64 v[94:95], v[99:100], -v[94:95]
	s_wait_dscnt 0x0
	v_add_f64_e32 v[97:98], v[101:102], v[105:106]
	v_add_f64_e32 v[99:100], v[103:104], v[107:108]
	v_add_f64_e64 v[101:102], v[105:106], -v[101:102]
	v_add_f64_e64 v[103:104], v[107:108], -v[103:104]
	;; [unrolled: 1-line block ×4, first 2 shown]
	v_add_f64_e32 v[84:85], v[120:121], v[109:110]
	v_add_f64_e32 v[86:87], v[122:123], v[113:114]
	v_add_f64_e64 v[105:106], v[109:110], -v[97:98]
	v_add_f64_e64 v[107:108], v[113:114], -v[99:100]
	;; [unrolled: 1-line block ×6, first 2 shown]
	v_add_f64_e32 v[92:93], v[101:102], v[92:93]
	v_add_f64_e32 v[94:95], v[103:104], v[94:95]
	v_add_f64_e64 v[101:102], v[88:89], -v[101:102]
	v_add_f64_e64 v[103:104], v[90:91], -v[103:104]
	;; [unrolled: 1-line block ×4, first 2 shown]
	v_add_f64_e32 v[132:133], v[97:98], v[84:85]
	v_add_f64_e32 v[134:135], v[99:100], v[86:87]
	v_add_f64_e64 v[97:98], v[97:98], -v[120:121]
	v_add_f64_e64 v[99:100], v[99:100], -v[122:123]
	ds_load_b128 v[84:87], v116
	v_mul_f64_e32 v[105:106], s[8:9], v[105:106]
	v_mul_f64_e32 v[107:108], s[8:9], v[107:108]
	;; [unrolled: 1-line block ×6, first 2 shown]
	v_add_f64_e32 v[88:89], v[92:93], v[88:89]
	v_add_f64_e32 v[90:91], v[94:95], v[90:91]
	global_wb scope:SCOPE_SE
	s_wait_dscnt 0x0
	s_barrier_signal -1
	s_barrier_wait -1
	global_inv scope:SCOPE_SE
	v_add_f64_e32 v[84:85], v[84:85], v[132:133]
	v_add_f64_e32 v[86:87], v[86:87], v[134:135]
	v_mul_f64_e32 v[120:121], s[12:13], v[97:98]
	v_mul_f64_e32 v[122:123], s[12:13], v[99:100]
	v_fma_f64 v[92:93], v[97:98], s[12:13], v[105:106]
	v_fma_f64 v[94:95], v[99:100], s[12:13], v[107:108]
	;; [unrolled: 1-line block ×4, first 2 shown]
	v_fma_f64 v[124:125], v[128:129], s[0:1], -v[124:125]
	v_fma_f64 v[126:127], v[130:131], s[0:1], -v[126:127]
	s_wait_alu 0xfffe
	v_fma_f64 v[101:102], v[101:102], s[22:23], -v[136:137]
	v_fma_f64 v[103:104], v[103:104], s[22:23], -v[138:139]
	;; [unrolled: 1-line block ×4, first 2 shown]
	v_fma_f64 v[128:129], v[132:133], s[14:15], v[84:85]
	v_fma_f64 v[130:131], v[134:135], s[14:15], v[86:87]
	v_fma_f64 v[109:110], v[109:110], s[16:17], -v[120:121]
	v_fma_f64 v[113:114], v[113:114], s[16:17], -v[122:123]
	v_fma_f64 v[122:123], v[88:89], s[24:25], v[97:98]
	v_fma_f64 v[120:121], v[90:91], s[24:25], v[99:100]
	;; [unrolled: 1-line block ×6, first 2 shown]
	v_add_f64_e32 v[136:137], v[92:93], v[128:129]
	v_add_f64_e32 v[138:139], v[94:95], v[130:131]
	;; [unrolled: 1-line block ×7, first 2 shown]
	v_add_f64_e64 v[90:91], v[138:139], -v[122:123]
	v_add_f64_e32 v[92:93], v[105:106], v[134:135]
	v_add_f64_e64 v[94:95], v[107:108], -v[132:133]
	v_add_f64_e64 v[97:98], v[101:102], -v[126:127]
	v_add_f64_e32 v[99:100], v[124:125], v[103:104]
	v_add_f64_e32 v[101:102], v[101:102], v[126:127]
	v_add_f64_e64 v[103:104], v[103:104], -v[124:125]
	v_add_f64_e64 v[105:106], v[105:106], -v[134:135]
	v_add_f64_e32 v[107:108], v[132:133], v[107:108]
	v_add_f64_e64 v[120:121], v[136:137], -v[120:121]
	v_add_f64_e32 v[122:123], v[122:123], v[138:139]
	ds_store_b128 v119, v[84:87]
	ds_store_b128 v119, v[88:91] offset:16
	ds_store_b128 v119, v[92:95] offset:32
	;; [unrolled: 1-line block ×6, first 2 shown]
	global_wb scope:SCOPE_SE
	s_wait_dscnt 0x0
	s_barrier_signal -1
	s_barrier_wait -1
	global_inv scope:SCOPE_SE
	ds_load_b128 v[84:87], v116 offset:336
	ds_load_b128 v[88:91], v116 offset:672
	;; [unrolled: 1-line block ×6, first 2 shown]
	s_wait_dscnt 0x5
	v_mul_f64_e32 v[109:110], v[34:35], v[86:87]
	v_mul_f64_e32 v[34:35], v[34:35], v[84:85]
	s_wait_dscnt 0x4
	v_mul_f64_e32 v[113:114], v[30:31], v[90:91]
	v_mul_f64_e32 v[30:31], v[30:31], v[88:89]
	;; [unrolled: 3-line block ×6, first 2 shown]
	v_fma_f64 v[84:85], v[32:33], v[84:85], v[109:110]
	v_fma_f64 v[32:33], v[32:33], v[86:87], -v[34:35]
	v_fma_f64 v[34:35], v[28:29], v[88:89], v[113:114]
	v_fma_f64 v[28:29], v[28:29], v[90:91], -v[30:31]
	;; [unrolled: 2-line block ×6, first 2 shown]
	v_add_f64_e32 v[50:51], v[84:85], v[30:31]
	v_add_f64_e32 v[86:87], v[32:33], v[44:45]
	;; [unrolled: 1-line block ×4, first 2 shown]
	v_add_f64_e64 v[34:35], v[34:35], -v[46:47]
	v_add_f64_e64 v[46:47], v[28:29], -v[56:57]
	v_add_f64_e32 v[28:29], v[58:59], v[54:55]
	v_add_f64_e32 v[56:57], v[52:53], v[48:49]
	v_add_f64_e64 v[54:55], v[54:55], -v[58:59]
	v_add_f64_e64 v[48:49], v[48:49], -v[52:53]
	;; [unrolled: 1-line block ×4, first 2 shown]
	v_add_f64_e32 v[30:31], v[88:89], v[50:51]
	v_add_f64_e32 v[32:33], v[90:91], v[86:87]
	v_add_f64_e64 v[58:59], v[50:51], -v[28:29]
	v_add_f64_e64 v[84:85], v[86:87], -v[56:57]
	;; [unrolled: 1-line block ×7, first 2 shown]
	v_add_f64_e32 v[107:108], v[54:55], v[34:35]
	v_add_f64_e32 v[46:47], v[48:49], v[46:47]
	v_add_f64_e64 v[54:55], v[52:53], -v[54:55]
	v_add_f64_e64 v[48:49], v[44:45], -v[48:49]
	v_add_f64_e32 v[101:102], v[28:29], v[30:31]
	v_add_f64_e32 v[103:104], v[56:57], v[32:33]
	v_add_f64_e64 v[56:57], v[56:57], -v[90:91]
	ds_load_b128 v[28:31], v116
	v_mul_f64_e32 v[58:59], s[8:9], v[58:59]
	v_mul_f64_e32 v[84:85], s[8:9], v[84:85]
	;; [unrolled: 1-line block ×6, first 2 shown]
	global_wb scope:SCOPE_SE
	s_wait_dscnt 0x0
	v_add_f64_e32 v[52:53], v[107:108], v[52:53]
	v_add_f64_e32 v[44:45], v[46:47], v[44:45]
	s_barrier_signal -1
	s_barrier_wait -1
	global_inv scope:SCOPE_SE
	v_add_f64_e32 v[32:33], v[28:29], v[101:102]
	v_add_f64_e32 v[34:35], v[30:31], v[103:104]
	v_add_f64_e64 v[28:29], v[88:89], -v[50:51]
	v_add_f64_e64 v[30:31], v[90:91], -v[86:87]
	v_mul_f64_e32 v[50:51], s[12:13], v[105:106]
	v_mul_f64_e32 v[86:87], s[12:13], v[56:57]
	v_fma_f64 v[46:47], v[105:106], s[12:13], v[58:59]
	v_fma_f64 v[56:57], v[56:57], s[12:13], v[84:85]
	;; [unrolled: 1-line block ×4, first 2 shown]
	v_fma_f64 v[92:93], v[97:98], s[0:1], -v[92:93]
	v_fma_f64 v[94:95], v[99:100], s[0:1], -v[94:95]
	;; [unrolled: 1-line block ×4, first 2 shown]
	v_fma_f64 v[97:98], v[101:102], s[14:15], v[32:33]
	v_fma_f64 v[99:100], v[103:104], s[14:15], v[34:35]
	v_fma_f64 v[58:59], v[28:29], s[18:19], -v[58:59]
	v_fma_f64 v[84:85], v[30:31], s[18:19], -v[84:85]
	;; [unrolled: 1-line block ×4, first 2 shown]
	v_fma_f64 v[88:89], v[52:53], s[24:25], v[88:89]
	v_fma_f64 v[90:91], v[44:45], s[24:25], v[90:91]
	;; [unrolled: 1-line block ×6, first 2 shown]
	v_add_f64_e32 v[103:104], v[46:47], v[97:98]
	v_add_f64_e32 v[105:106], v[56:57], v[99:100]
	;; [unrolled: 1-line block ×7, first 2 shown]
	v_add_f64_e64 v[46:47], v[105:106], -v[88:89]
	v_add_f64_e32 v[48:49], v[101:102], v[107:108]
	v_add_f64_e64 v[50:51], v[109:110], -v[94:95]
	v_add_f64_e64 v[52:53], v[28:29], -v[92:93]
	v_add_f64_e32 v[54:55], v[86:87], v[30:31]
	v_add_f64_e32 v[56:57], v[92:93], v[28:29]
	v_add_f64_e64 v[58:59], v[30:31], -v[86:87]
	v_add_f64_e64 v[84:85], v[107:108], -v[101:102]
	v_add_f64_e32 v[86:87], v[94:95], v[109:110]
	v_add_f64_e64 v[28:29], v[103:104], -v[90:91]
	v_add_f64_e32 v[30:31], v[88:89], v[105:106]
	ds_store_b128 v118, v[32:35]
	ds_store_b128 v118, v[44:47] offset:112
	ds_store_b128 v118, v[48:51] offset:224
	;; [unrolled: 1-line block ×6, first 2 shown]
	global_wb scope:SCOPE_SE
	s_wait_dscnt 0x0
	s_barrier_signal -1
	s_barrier_wait -1
	global_inv scope:SCOPE_SE
	ds_load_b128 v[44:47], v116
	ds_load_b128 v[32:35], v116 offset:336
	ds_load_b128 v[56:59], v116 offset:784
	;; [unrolled: 1-line block ×5, first 2 shown]
	v_add_nc_u32_e32 v88, 0x150, v116
	s_and_saveexec_b32 s0, vcc_lo
	s_cbranch_execz .LBB0_7
; %bb.6:
	ds_load_b128 v[28:31], v116 offset:672
	ds_load_b128 v[76:79], v116 offset:1456
	;; [unrolled: 1-line block ×3, first 2 shown]
.LBB0_7:
	s_wait_alu 0xfffe
	s_or_b32 exec_lo, exec_lo, s0
	s_wait_dscnt 0x3
	v_mul_f64_e32 v[89:90], v[66:67], v[58:59]
	s_wait_dscnt 0x1
	v_mul_f64_e32 v[91:92], v[62:63], v[86:87]
	v_mul_f64_e32 v[66:67], v[66:67], v[56:57]
	;; [unrolled: 1-line block ×4, first 2 shown]
	s_wait_dscnt 0x0
	v_mul_f64_e32 v[97:98], v[70:71], v[54:55]
	v_mul_f64_e32 v[74:75], v[74:75], v[48:49]
	;; [unrolled: 1-line block ×3, first 2 shown]
	s_mov_b32 s0, 0xe8584caa
	s_mov_b32 s1, 0xbfebb67a
	;; [unrolled: 1-line block ×3, first 2 shown]
	s_wait_alu 0xfffe
	s_mov_b32 s8, s0
	v_fma_f64 v[56:57], v[64:65], v[56:57], v[89:90]
	v_fma_f64 v[84:85], v[60:61], v[84:85], v[91:92]
	v_fma_f64 v[58:59], v[64:65], v[58:59], -v[66:67]
	v_fma_f64 v[60:61], v[60:61], v[86:87], -v[62:63]
	v_fma_f64 v[48:49], v[72:73], v[48:49], v[93:94]
	v_fma_f64 v[52:53], v[68:69], v[52:53], v[97:98]
	v_fma_f64 v[50:51], v[72:73], v[50:51], -v[74:75]
	v_fma_f64 v[54:55], v[68:69], v[54:55], -v[70:71]
	v_add_f64_e32 v[70:71], v[44:45], v[56:57]
	v_add_f64_e32 v[62:63], v[56:57], v[84:85]
	v_add_f64_e64 v[56:57], v[56:57], -v[84:85]
	v_add_f64_e32 v[64:65], v[58:59], v[60:61]
	v_add_f64_e64 v[72:73], v[58:59], -v[60:61]
	v_add_f64_e32 v[66:67], v[48:49], v[52:53]
	v_add_f64_e32 v[58:59], v[46:47], v[58:59]
	;; [unrolled: 1-line block ×5, first 2 shown]
	v_add_f64_e64 v[89:90], v[50:51], -v[54:55]
	v_add_f64_e64 v[91:92], v[48:49], -v[52:53]
	v_fma_f64 v[62:63], v[62:63], -0.5, v[44:45]
	v_fma_f64 v[64:65], v[64:65], -0.5, v[46:47]
	;; [unrolled: 1-line block ×3, first 2 shown]
	v_add_f64_e32 v[32:33], v[70:71], v[84:85]
	v_fma_f64 v[68:69], v[68:69], -0.5, v[34:35]
	v_add_f64_e32 v[34:35], v[58:59], v[60:61]
	v_add_f64_e32 v[44:45], v[74:75], v[52:53]
	;; [unrolled: 1-line block ×3, first 2 shown]
	v_fma_f64 v[48:49], v[72:73], s[0:1], v[62:63]
	s_wait_alu 0xfffe
	v_fma_f64 v[52:53], v[72:73], s[8:9], v[62:63]
	v_fma_f64 v[50:51], v[56:57], s[8:9], v[64:65]
	v_fma_f64 v[54:55], v[56:57], s[0:1], v[64:65]
	v_fma_f64 v[56:57], v[89:90], s[0:1], v[66:67]
	v_fma_f64 v[60:61], v[89:90], s[8:9], v[66:67]
	v_fma_f64 v[58:59], v[91:92], s[8:9], v[68:69]
	v_fma_f64 v[62:63], v[91:92], s[0:1], v[68:69]
	ds_store_b128 v116, v[32:35]
	ds_store_b128 v96, v[48:51] offset:784
	ds_store_b128 v96, v[52:55] offset:1568
	;; [unrolled: 1-line block ×5, first 2 shown]
	s_and_saveexec_b32 s10, vcc_lo
	s_cbranch_execz .LBB0_9
; %bb.8:
	v_mul_f64_e32 v[32:33], v[42:43], v[76:77]
	v_mul_f64_e32 v[34:35], v[38:39], v[80:81]
	;; [unrolled: 1-line block ×4, first 2 shown]
	s_delay_alu instid0(VALU_DEP_4) | instskip(NEXT) | instid1(VALU_DEP_4)
	v_fma_f64 v[32:33], v[40:41], v[78:79], -v[32:33]
	v_fma_f64 v[34:35], v[36:37], v[82:83], -v[34:35]
	s_delay_alu instid0(VALU_DEP_4) | instskip(NEXT) | instid1(VALU_DEP_4)
	v_fma_f64 v[40:41], v[40:41], v[76:77], v[42:43]
	v_fma_f64 v[36:37], v[36:37], v[80:81], v[38:39]
	s_delay_alu instid0(VALU_DEP_4) | instskip(NEXT) | instid1(VALU_DEP_4)
	v_add_f64_e32 v[46:47], v[30:31], v[32:33]
	v_add_f64_e32 v[38:39], v[32:33], v[34:35]
	v_add_f64_e64 v[32:33], v[32:33], -v[34:35]
	s_delay_alu instid0(VALU_DEP_4)
	v_add_f64_e32 v[42:43], v[40:41], v[36:37]
	v_add_f64_e64 v[44:45], v[40:41], -v[36:37]
	v_add_f64_e32 v[40:41], v[28:29], v[40:41]
	v_fma_f64 v[38:39], v[38:39], -0.5, v[30:31]
	v_add_f64_e32 v[30:31], v[46:47], v[34:35]
	v_fma_f64 v[42:43], v[42:43], -0.5, v[28:29]
	s_delay_alu instid0(VALU_DEP_4) | instskip(NEXT) | instid1(VALU_DEP_4)
	v_add_f64_e32 v[28:29], v[40:41], v[36:37]
	v_fma_f64 v[34:35], v[44:45], s[0:1], v[38:39]
	v_fma_f64 v[38:39], v[44:45], s[8:9], v[38:39]
	s_delay_alu instid0(VALU_DEP_4)
	v_fma_f64 v[36:37], v[32:33], s[0:1], v[42:43]
	v_fma_f64 v[32:33], v[32:33], s[8:9], v[42:43]
	ds_store_b128 v116, v[28:31] offset:672
	ds_store_b128 v96, v[36:39] offset:1456
	;; [unrolled: 1-line block ×3, first 2 shown]
.LBB0_9:
	s_wait_alu 0xfffe
	s_or_b32 exec_lo, exec_lo, s10
	global_wb scope:SCOPE_SE
	s_wait_dscnt 0x0
	s_barrier_signal -1
	s_barrier_wait -1
	global_inv scope:SCOPE_SE
	ds_load_b128 v[28:31], v116
	ds_load_b128 v[32:35], v116 offset:336
	ds_load_b128 v[36:39], v116 offset:672
	;; [unrolled: 1-line block ×6, first 2 shown]
	v_mad_co_u64_u32 v[70:71], null, s6, v112, 0
	v_mad_co_u64_u32 v[72:73], null, s4, v115, 0
	s_mov_b32 s0, 0x899406f7
	s_mov_b32 s1, 0x3f7bdd2b
	s_wait_dscnt 0x6
	v_mul_f64_e32 v[56:57], v[2:3], v[30:31]
	v_mul_f64_e32 v[2:3], v[2:3], v[28:29]
	s_wait_dscnt 0x5
	v_mul_f64_e32 v[58:59], v[6:7], v[34:35]
	v_mul_f64_e32 v[6:7], v[6:7], v[32:33]
	;; [unrolled: 3-line block ×7, first 2 shown]
	v_fma_f64 v[28:29], v[0:1], v[28:29], v[56:57]
	v_fma_f64 v[2:3], v[0:1], v[30:31], -v[2:3]
	v_fma_f64 v[30:31], v[4:5], v[32:33], v[58:59]
	v_fma_f64 v[6:7], v[4:5], v[34:35], -v[6:7]
	;; [unrolled: 2-line block ×7, first 2 shown]
	v_mad_co_u64_u32 v[4:5], null, s7, v112, v[71:72]
	s_delay_alu instid0(VALU_DEP_1) | instskip(NEXT) | instid1(VALU_DEP_1)
	v_dual_mov_b32 v0, v73 :: v_dual_mov_b32 v71, v4
	v_mad_co_u64_u32 v[0:1], null, s5, v115, v[0:1]
	s_delay_alu instid0(VALU_DEP_1) | instskip(NEXT) | instid1(VALU_DEP_3)
	v_mov_b32_e32 v73, v0
	v_lshlrev_b64_e32 v[0:1], 4, v[70:71]
	s_delay_alu instid0(VALU_DEP_2) | instskip(NEXT) | instid1(VALU_DEP_2)
	v_lshlrev_b64_e32 v[42:43], 4, v[72:73]
	v_add_co_u32 v44, vcc_lo, s2, v0
	s_wait_alu 0xfffd
	s_delay_alu instid0(VALU_DEP_3)
	v_add_co_ci_u32_e32 v45, vcc_lo, s3, v1, vcc_lo
	s_wait_alu 0xfffe
	v_mul_f64_e32 v[0:1], s[0:1], v[28:29]
	v_mul_f64_e32 v[2:3], s[0:1], v[2:3]
	;; [unrolled: 1-line block ×14, first 2 shown]
	v_add_co_u32 v28, vcc_lo, v44, v42
	s_wait_alu 0xfffd
	v_add_co_ci_u32_e32 v29, vcc_lo, v45, v43, vcc_lo
	s_mul_u64 s[0:1], s[4:5], 0x150
	s_wait_alu 0xfffe
	v_add_co_u32 v30, vcc_lo, v28, s0
	s_wait_alu 0xfffd
	v_add_co_ci_u32_e32 v31, vcc_lo, s1, v29, vcc_lo
	s_delay_alu instid0(VALU_DEP_2) | instskip(SKIP_1) | instid1(VALU_DEP_2)
	v_add_co_u32 v32, vcc_lo, v30, s0
	s_wait_alu 0xfffd
	v_add_co_ci_u32_e32 v33, vcc_lo, s1, v31, vcc_lo
	s_delay_alu instid0(VALU_DEP_2) | instskip(SKIP_1) | instid1(VALU_DEP_2)
	;; [unrolled: 4-line block ×5, first 2 shown]
	v_add_co_u32 v40, vcc_lo, v38, s0
	s_wait_alu 0xfffd
	v_add_co_ci_u32_e32 v41, vcc_lo, s1, v39, vcc_lo
	s_clause 0x4
	global_store_b128 v[28:29], v[0:3], off
	global_store_b128 v[30:31], v[4:7], off
	;; [unrolled: 1-line block ×7, first 2 shown]
.LBB0_10:
	s_nop 0
	s_sendmsg sendmsg(MSG_DEALLOC_VGPRS)
	s_endpgm
	.section	.rodata,"a",@progbits
	.p2align	6, 0x0
	.amdhsa_kernel bluestein_single_fwd_len147_dim1_dp_op_CI_CI
		.amdhsa_group_segment_fixed_size 7056
		.amdhsa_private_segment_fixed_size 0
		.amdhsa_kernarg_size 104
		.amdhsa_user_sgpr_count 2
		.amdhsa_user_sgpr_dispatch_ptr 0
		.amdhsa_user_sgpr_queue_ptr 0
		.amdhsa_user_sgpr_kernarg_segment_ptr 1
		.amdhsa_user_sgpr_dispatch_id 0
		.amdhsa_user_sgpr_private_segment_size 0
		.amdhsa_wavefront_size32 1
		.amdhsa_uses_dynamic_stack 0
		.amdhsa_enable_private_segment 0
		.amdhsa_system_sgpr_workgroup_id_x 1
		.amdhsa_system_sgpr_workgroup_id_y 0
		.amdhsa_system_sgpr_workgroup_id_z 0
		.amdhsa_system_sgpr_workgroup_info 0
		.amdhsa_system_vgpr_workitem_id 0
		.amdhsa_next_free_vgpr 166
		.amdhsa_next_free_sgpr 30
		.amdhsa_reserve_vcc 1
		.amdhsa_float_round_mode_32 0
		.amdhsa_float_round_mode_16_64 0
		.amdhsa_float_denorm_mode_32 3
		.amdhsa_float_denorm_mode_16_64 3
		.amdhsa_fp16_overflow 0
		.amdhsa_workgroup_processor_mode 1
		.amdhsa_memory_ordered 1
		.amdhsa_forward_progress 0
		.amdhsa_round_robin_scheduling 0
		.amdhsa_exception_fp_ieee_invalid_op 0
		.amdhsa_exception_fp_denorm_src 0
		.amdhsa_exception_fp_ieee_div_zero 0
		.amdhsa_exception_fp_ieee_overflow 0
		.amdhsa_exception_fp_ieee_underflow 0
		.amdhsa_exception_fp_ieee_inexact 0
		.amdhsa_exception_int_div_zero 0
	.end_amdhsa_kernel
	.text
.Lfunc_end0:
	.size	bluestein_single_fwd_len147_dim1_dp_op_CI_CI, .Lfunc_end0-bluestein_single_fwd_len147_dim1_dp_op_CI_CI
                                        ; -- End function
	.section	.AMDGPU.csdata,"",@progbits
; Kernel info:
; codeLenInByte = 7212
; NumSgprs: 32
; NumVgprs: 166
; ScratchSize: 0
; MemoryBound: 0
; FloatMode: 240
; IeeeMode: 1
; LDSByteSize: 7056 bytes/workgroup (compile time only)
; SGPRBlocks: 3
; VGPRBlocks: 20
; NumSGPRsForWavesPerEU: 32
; NumVGPRsForWavesPerEU: 166
; Occupancy: 9
; WaveLimiterHint : 1
; COMPUTE_PGM_RSRC2:SCRATCH_EN: 0
; COMPUTE_PGM_RSRC2:USER_SGPR: 2
; COMPUTE_PGM_RSRC2:TRAP_HANDLER: 0
; COMPUTE_PGM_RSRC2:TGID_X_EN: 1
; COMPUTE_PGM_RSRC2:TGID_Y_EN: 0
; COMPUTE_PGM_RSRC2:TGID_Z_EN: 0
; COMPUTE_PGM_RSRC2:TIDIG_COMP_CNT: 0
	.text
	.p2alignl 7, 3214868480
	.fill 96, 4, 3214868480
	.type	__hip_cuid_159b18c38e2bc21b,@object ; @__hip_cuid_159b18c38e2bc21b
	.section	.bss,"aw",@nobits
	.globl	__hip_cuid_159b18c38e2bc21b
__hip_cuid_159b18c38e2bc21b:
	.byte	0                               ; 0x0
	.size	__hip_cuid_159b18c38e2bc21b, 1

	.ident	"AMD clang version 19.0.0git (https://github.com/RadeonOpenCompute/llvm-project roc-6.4.0 25133 c7fe45cf4b819c5991fe208aaa96edf142730f1d)"
	.section	".note.GNU-stack","",@progbits
	.addrsig
	.addrsig_sym __hip_cuid_159b18c38e2bc21b
	.amdgpu_metadata
---
amdhsa.kernels:
  - .args:
      - .actual_access:  read_only
        .address_space:  global
        .offset:         0
        .size:           8
        .value_kind:     global_buffer
      - .actual_access:  read_only
        .address_space:  global
        .offset:         8
        .size:           8
        .value_kind:     global_buffer
      - .actual_access:  read_only
        .address_space:  global
        .offset:         16
        .size:           8
        .value_kind:     global_buffer
      - .actual_access:  read_only
        .address_space:  global
        .offset:         24
        .size:           8
        .value_kind:     global_buffer
      - .actual_access:  read_only
        .address_space:  global
        .offset:         32
        .size:           8
        .value_kind:     global_buffer
      - .offset:         40
        .size:           8
        .value_kind:     by_value
      - .address_space:  global
        .offset:         48
        .size:           8
        .value_kind:     global_buffer
      - .address_space:  global
        .offset:         56
        .size:           8
        .value_kind:     global_buffer
      - .address_space:  global
        .offset:         64
        .size:           8
        .value_kind:     global_buffer
      - .address_space:  global
        .offset:         72
        .size:           8
        .value_kind:     global_buffer
      - .offset:         80
        .size:           4
        .value_kind:     by_value
      - .address_space:  global
        .offset:         88
        .size:           8
        .value_kind:     global_buffer
      - .address_space:  global
        .offset:         96
        .size:           8
        .value_kind:     global_buffer
    .group_segment_fixed_size: 7056
    .kernarg_segment_align: 8
    .kernarg_segment_size: 104
    .language:       OpenCL C
    .language_version:
      - 2
      - 0
    .max_flat_workgroup_size: 63
    .name:           bluestein_single_fwd_len147_dim1_dp_op_CI_CI
    .private_segment_fixed_size: 0
    .sgpr_count:     32
    .sgpr_spill_count: 0
    .symbol:         bluestein_single_fwd_len147_dim1_dp_op_CI_CI.kd
    .uniform_work_group_size: 1
    .uses_dynamic_stack: false
    .vgpr_count:     166
    .vgpr_spill_count: 0
    .wavefront_size: 32
    .workgroup_processor_mode: 1
amdhsa.target:   amdgcn-amd-amdhsa--gfx1201
amdhsa.version:
  - 1
  - 2
...

	.end_amdgpu_metadata
